;; amdgpu-corpus repo=ROCm/rocFFT kind=compiled arch=gfx1030 opt=O3
	.text
	.amdgcn_target "amdgcn-amd-amdhsa--gfx1030"
	.amdhsa_code_object_version 6
	.protected	fft_rtc_back_len546_factors_13_3_7_2_wgs_117_tpt_39_halfLds_sp_ip_CI_unitstride_sbrr_C2R_dirReg ; -- Begin function fft_rtc_back_len546_factors_13_3_7_2_wgs_117_tpt_39_halfLds_sp_ip_CI_unitstride_sbrr_C2R_dirReg
	.globl	fft_rtc_back_len546_factors_13_3_7_2_wgs_117_tpt_39_halfLds_sp_ip_CI_unitstride_sbrr_C2R_dirReg
	.p2align	8
	.type	fft_rtc_back_len546_factors_13_3_7_2_wgs_117_tpt_39_halfLds_sp_ip_CI_unitstride_sbrr_C2R_dirReg,@function
fft_rtc_back_len546_factors_13_3_7_2_wgs_117_tpt_39_halfLds_sp_ip_CI_unitstride_sbrr_C2R_dirReg: ; @fft_rtc_back_len546_factors_13_3_7_2_wgs_117_tpt_39_halfLds_sp_ip_CI_unitstride_sbrr_C2R_dirReg
; %bb.0:
	s_load_dwordx4 s[8:11], s[4:5], 0x0
	v_mul_u32_u24_e32 v1, 0x691, v0
	s_clause 0x1
	s_load_dwordx2 s[2:3], s[4:5], 0x50
	s_load_dwordx2 s[12:13], s[4:5], 0x18
	v_mov_b32_e32 v5, 0
	v_mov_b32_e32 v3, 0
	;; [unrolled: 1-line block ×3, first 2 shown]
	v_lshrrev_b32_e32 v1, 16, v1
	v_mad_u64_u32 v[1:2], null, s6, 3, v[1:2]
	v_mov_b32_e32 v2, v5
	v_mov_b32_e32 v10, v2
	;; [unrolled: 1-line block ×3, first 2 shown]
	s_waitcnt lgkmcnt(0)
	v_cmp_lt_u64_e64 s0, s[10:11], 2
	s_and_b32 vcc_lo, exec_lo, s0
	s_cbranch_vccnz .LBB0_8
; %bb.1:
	s_load_dwordx2 s[0:1], s[4:5], 0x10
	v_mov_b32_e32 v3, 0
	v_mov_b32_e32 v8, v2
	s_add_u32 s6, s12, 8
	v_mov_b32_e32 v4, 0
	v_mov_b32_e32 v7, v1
	s_addc_u32 s7, s13, 0
	s_mov_b64 s[16:17], 1
	s_waitcnt lgkmcnt(0)
	s_add_u32 s14, s0, 8
	s_addc_u32 s15, s1, 0
.LBB0_2:                                ; =>This Inner Loop Header: Depth=1
	s_load_dwordx2 s[18:19], s[14:15], 0x0
                                        ; implicit-def: $vgpr9_vgpr10
	s_mov_b32 s0, exec_lo
	s_waitcnt lgkmcnt(0)
	v_or_b32_e32 v6, s19, v8
	v_cmpx_ne_u64_e32 0, v[5:6]
	s_xor_b32 s1, exec_lo, s0
	s_cbranch_execz .LBB0_4
; %bb.3:                                ;   in Loop: Header=BB0_2 Depth=1
	v_cvt_f32_u32_e32 v2, s18
	v_cvt_f32_u32_e32 v6, s19
	s_sub_u32 s0, 0, s18
	s_subb_u32 s20, 0, s19
	v_fmac_f32_e32 v2, 0x4f800000, v6
	v_rcp_f32_e32 v2, v2
	v_mul_f32_e32 v2, 0x5f7ffffc, v2
	v_mul_f32_e32 v6, 0x2f800000, v2
	v_trunc_f32_e32 v6, v6
	v_fmac_f32_e32 v2, 0xcf800000, v6
	v_cvt_u32_f32_e32 v6, v6
	v_cvt_u32_f32_e32 v2, v2
	v_mul_lo_u32 v9, s0, v6
	v_mul_hi_u32 v10, s0, v2
	v_mul_lo_u32 v11, s20, v2
	v_add_nc_u32_e32 v9, v10, v9
	v_mul_lo_u32 v10, s0, v2
	v_add_nc_u32_e32 v9, v9, v11
	v_mul_hi_u32 v11, v2, v10
	v_mul_lo_u32 v12, v2, v9
	v_mul_hi_u32 v13, v2, v9
	v_mul_hi_u32 v14, v6, v10
	v_mul_lo_u32 v10, v6, v10
	v_mul_hi_u32 v15, v6, v9
	v_mul_lo_u32 v9, v6, v9
	v_add_co_u32 v11, vcc_lo, v11, v12
	v_add_co_ci_u32_e32 v12, vcc_lo, 0, v13, vcc_lo
	v_add_co_u32 v10, vcc_lo, v11, v10
	v_add_co_ci_u32_e32 v10, vcc_lo, v12, v14, vcc_lo
	v_add_co_ci_u32_e32 v11, vcc_lo, 0, v15, vcc_lo
	v_add_co_u32 v9, vcc_lo, v10, v9
	v_add_co_ci_u32_e32 v10, vcc_lo, 0, v11, vcc_lo
	v_add_co_u32 v2, vcc_lo, v2, v9
	v_add_co_ci_u32_e32 v6, vcc_lo, v6, v10, vcc_lo
	v_mul_hi_u32 v9, s0, v2
	v_mul_lo_u32 v11, s20, v2
	v_mul_lo_u32 v10, s0, v6
	v_add_nc_u32_e32 v9, v9, v10
	v_mul_lo_u32 v10, s0, v2
	v_add_nc_u32_e32 v9, v9, v11
	v_mul_hi_u32 v11, v2, v10
	v_mul_lo_u32 v12, v2, v9
	v_mul_hi_u32 v13, v2, v9
	v_mul_hi_u32 v14, v6, v10
	v_mul_lo_u32 v10, v6, v10
	v_mul_hi_u32 v15, v6, v9
	v_mul_lo_u32 v9, v6, v9
	v_add_co_u32 v11, vcc_lo, v11, v12
	v_add_co_ci_u32_e32 v12, vcc_lo, 0, v13, vcc_lo
	v_add_co_u32 v10, vcc_lo, v11, v10
	v_add_co_ci_u32_e32 v10, vcc_lo, v12, v14, vcc_lo
	v_add_co_ci_u32_e32 v11, vcc_lo, 0, v15, vcc_lo
	v_add_co_u32 v9, vcc_lo, v10, v9
	v_add_co_ci_u32_e32 v10, vcc_lo, 0, v11, vcc_lo
	v_add_co_u32 v2, vcc_lo, v2, v9
	v_add_co_ci_u32_e32 v6, vcc_lo, v6, v10, vcc_lo
	v_mul_hi_u32 v15, v7, v2
	v_mad_u64_u32 v[11:12], null, v8, v2, 0
	v_mad_u64_u32 v[9:10], null, v7, v6, 0
	v_mad_u64_u32 v[13:14], null, v8, v6, 0
	v_add_co_u32 v2, vcc_lo, v15, v9
	v_add_co_ci_u32_e32 v6, vcc_lo, 0, v10, vcc_lo
	v_add_co_u32 v2, vcc_lo, v2, v11
	v_add_co_ci_u32_e32 v2, vcc_lo, v6, v12, vcc_lo
	v_add_co_ci_u32_e32 v6, vcc_lo, 0, v14, vcc_lo
	v_add_co_u32 v2, vcc_lo, v2, v13
	v_add_co_ci_u32_e32 v6, vcc_lo, 0, v6, vcc_lo
	v_mul_lo_u32 v11, s19, v2
	v_mad_u64_u32 v[9:10], null, s18, v2, 0
	v_mul_lo_u32 v12, s18, v6
	v_sub_co_u32 v9, vcc_lo, v7, v9
	v_add3_u32 v10, v10, v12, v11
	v_sub_nc_u32_e32 v11, v8, v10
	v_subrev_co_ci_u32_e64 v11, s0, s19, v11, vcc_lo
	v_add_co_u32 v12, s0, v2, 2
	v_add_co_ci_u32_e64 v13, s0, 0, v6, s0
	v_sub_co_u32 v14, s0, v9, s18
	v_sub_co_ci_u32_e32 v10, vcc_lo, v8, v10, vcc_lo
	v_subrev_co_ci_u32_e64 v11, s0, 0, v11, s0
	v_cmp_le_u32_e32 vcc_lo, s18, v14
	v_cmp_eq_u32_e64 s0, s19, v10
	v_cndmask_b32_e64 v14, 0, -1, vcc_lo
	v_cmp_le_u32_e32 vcc_lo, s19, v11
	v_cndmask_b32_e64 v15, 0, -1, vcc_lo
	v_cmp_le_u32_e32 vcc_lo, s18, v9
	;; [unrolled: 2-line block ×3, first 2 shown]
	v_cndmask_b32_e64 v16, 0, -1, vcc_lo
	v_cmp_eq_u32_e32 vcc_lo, s19, v11
	v_cndmask_b32_e64 v9, v16, v9, s0
	v_cndmask_b32_e32 v11, v15, v14, vcc_lo
	v_add_co_u32 v14, vcc_lo, v2, 1
	v_add_co_ci_u32_e32 v15, vcc_lo, 0, v6, vcc_lo
	v_cmp_ne_u32_e32 vcc_lo, 0, v11
	v_cndmask_b32_e32 v10, v15, v13, vcc_lo
	v_cndmask_b32_e32 v11, v14, v12, vcc_lo
	v_cmp_ne_u32_e32 vcc_lo, 0, v9
	v_cndmask_b32_e32 v10, v6, v10, vcc_lo
	v_cndmask_b32_e32 v9, v2, v11, vcc_lo
.LBB0_4:                                ;   in Loop: Header=BB0_2 Depth=1
	s_andn2_saveexec_b32 s0, s1
	s_cbranch_execz .LBB0_6
; %bb.5:                                ;   in Loop: Header=BB0_2 Depth=1
	v_cvt_f32_u32_e32 v2, s18
	s_sub_i32 s1, 0, s18
	v_rcp_iflag_f32_e32 v2, v2
	v_mul_f32_e32 v2, 0x4f7ffffe, v2
	v_cvt_u32_f32_e32 v2, v2
	v_mul_lo_u32 v6, s1, v2
	v_mul_hi_u32 v6, v2, v6
	v_add_nc_u32_e32 v2, v2, v6
	v_mul_hi_u32 v2, v7, v2
	v_mul_lo_u32 v6, v2, s18
	v_add_nc_u32_e32 v9, 1, v2
	v_sub_nc_u32_e32 v6, v7, v6
	v_subrev_nc_u32_e32 v10, s18, v6
	v_cmp_le_u32_e32 vcc_lo, s18, v6
	v_cndmask_b32_e32 v6, v6, v10, vcc_lo
	v_cndmask_b32_e32 v2, v2, v9, vcc_lo
	v_mov_b32_e32 v10, v5
	v_cmp_le_u32_e32 vcc_lo, s18, v6
	v_add_nc_u32_e32 v9, 1, v2
	v_cndmask_b32_e32 v9, v2, v9, vcc_lo
.LBB0_6:                                ;   in Loop: Header=BB0_2 Depth=1
	s_or_b32 exec_lo, exec_lo, s0
	s_load_dwordx2 s[0:1], s[6:7], 0x0
	v_mul_lo_u32 v2, v10, s18
	v_mul_lo_u32 v6, v9, s19
	v_mad_u64_u32 v[11:12], null, v9, s18, 0
	s_add_u32 s16, s16, 1
	s_addc_u32 s17, s17, 0
	s_add_u32 s6, s6, 8
	s_addc_u32 s7, s7, 0
	;; [unrolled: 2-line block ×3, first 2 shown]
	v_add3_u32 v2, v12, v6, v2
	v_sub_co_u32 v6, vcc_lo, v7, v11
	v_sub_co_ci_u32_e32 v2, vcc_lo, v8, v2, vcc_lo
	s_waitcnt lgkmcnt(0)
	v_mul_lo_u32 v7, s1, v6
	v_mul_lo_u32 v2, s0, v2
	v_mad_u64_u32 v[3:4], null, s0, v6, v[3:4]
	v_cmp_ge_u64_e64 s0, s[16:17], s[10:11]
	s_and_b32 vcc_lo, exec_lo, s0
	v_add3_u32 v4, v7, v4, v2
	s_cbranch_vccnz .LBB0_8
; %bb.7:                                ;   in Loop: Header=BB0_2 Depth=1
	v_mov_b32_e32 v7, v9
	v_mov_b32_e32 v8, v10
	s_branch .LBB0_2
.LBB0_8:
	s_lshl_b64 s[0:1], s[10:11], 3
	v_mul_hi_u32 v2, 0xaaaaaaab, v1
	s_add_u32 s0, s12, s0
	s_addc_u32 s1, s13, s1
	s_load_dwordx2 s[4:5], s[4:5], 0x20
	s_load_dwordx2 s[0:1], s[0:1], 0x0
	v_mul_hi_u32 v5, 0x6906907, v0
	v_lshrrev_b32_e32 v2, 1, v2
	v_lshl_add_u32 v6, v2, 1, v2
	v_sub_nc_u32_e32 v1, v1, v6
	s_waitcnt lgkmcnt(0)
	v_cmp_gt_u64_e32 vcc_lo, s[4:5], v[9:10]
	v_mul_lo_u32 v7, s0, v10
	v_mul_lo_u32 v8, s1, v9
	v_mad_u64_u32 v[2:3], null, s0, v9, v[3:4]
	v_mul_u32_u24_e32 v4, 39, v5
	v_mul_u32_u24_e32 v61, 0x223, v1
	v_mov_b32_e32 v1, 0
	v_sub_nc_u32_e32 v0, v0, v4
	v_add3_u32 v3, v8, v3, v7
	v_lshlrev_b32_e32 v64, 3, v61
	v_mov_b32_e32 v48, v0
	v_lshlrev_b64 v[50:51], 3, v[2:3]
	s_and_saveexec_b32 s1, vcc_lo
	s_cbranch_execz .LBB0_12
; %bb.9:
	v_lshlrev_b64 v[5:6], 3, v[0:1]
	v_add_co_u32 v3, s0, s2, v50
	v_add_co_ci_u32_e64 v4, s0, s3, v51, s0
	v_lshlrev_b32_e32 v2, 3, v0
	v_add_co_u32 v5, s0, v3, v5
	v_add_co_ci_u32_e64 v6, s0, v4, v6, s0
	s_mov_b32 s4, exec_lo
	v_add_co_u32 v7, s0, 0x800, v5
	v_add_co_ci_u32_e64 v8, s0, 0, v6, s0
	s_clause 0xd
	global_load_dwordx2 v[9:10], v[5:6], off
	global_load_dwordx2 v[11:12], v[5:6], off offset:312
	global_load_dwordx2 v[13:14], v[5:6], off offset:624
	;; [unrolled: 1-line block ×13, first 2 shown]
	v_add3_u32 v5, 0, v64, v2
	v_mov_b32_e32 v2, v1
	v_mov_b32_e32 v1, v0
	v_add_nc_u32_e32 v8, 0x400, v5
	v_add_nc_u32_e32 v35, 0x800, v5
	s_waitcnt vmcnt(12)
	ds_write2_b64 v5, v[9:10], v[11:12] offset1:39
	s_waitcnt vmcnt(10)
	ds_write2_b64 v5, v[13:14], v[15:16] offset0:78 offset1:117
	s_waitcnt vmcnt(8)
	ds_write2_b64 v5, v[17:18], v[19:20] offset0:156 offset1:195
	;; [unrolled: 2-line block ×6, first 2 shown]
	v_cmpx_eq_u32_e32 38, v0
	s_cbranch_execz .LBB0_11
; %bb.10:
	v_add_co_u32 v0, s0, 0x1000, v3
	v_add_co_ci_u32_e64 v1, s0, 0, v4, s0
	global_load_dwordx2 v[3:4], v[0:1], off offset:272
	v_mov_b32_e32 v1, 38
	v_mov_b32_e32 v2, 0
	;; [unrolled: 1-line block ×3, first 2 shown]
	s_waitcnt vmcnt(0)
	ds_write_b64 v5, v[3:4] offset:4064
.LBB0_11:
	s_or_b32 exec_lo, exec_lo, s4
	v_mov_b32_e32 v48, v0
	v_mov_b32_e32 v0, v1
	;; [unrolled: 1-line block ×3, first 2 shown]
.LBB0_12:
	s_or_b32 exec_lo, exec_lo, s1
	v_lshl_add_u32 v60, v61, 3, 0
	v_lshlrev_b32_e32 v2, 3, v48
	s_waitcnt lgkmcnt(0)
	s_barrier
	buffer_gl0_inv
	v_lshlrev_b64 v[52:53], 3, v[0:1]
	v_add_nc_u32_e32 v62, v60, v2
	v_sub_nc_u32_e32 v2, v60, v2
	s_add_u32 s1, s8, 0x10a8
	s_addc_u32 s4, s9, 0
	ds_read_b32 v3, v62
	ds_read_b32 v4, v2 offset:4368
	s_mov_b32 s5, exec_lo
	s_waitcnt lgkmcnt(0)
	v_add_f32_e32 v0, v4, v3
	v_sub_f32_e32 v1, v3, v4
	v_cmpx_ne_u32_e32 0, v48
	s_xor_b32 s5, exec_lo, s5
	s_cbranch_execz .LBB0_14
; %bb.13:
	v_add_co_u32 v3, s0, s1, v52
	v_add_co_ci_u32_e64 v4, s0, s4, v53, s0
	global_load_dwordx2 v[3:4], v[3:4], off
	ds_read_b32 v5, v2 offset:4372
	ds_read_b32 v6, v62 offset:4
	s_waitcnt lgkmcnt(0)
	v_add_f32_e32 v8, v5, v6
	v_sub_f32_e32 v7, v6, v5
	s_waitcnt vmcnt(0)
	v_fma_f32 v9, v1, v4, v0
	v_fma_f32 v5, v8, v4, v7
	v_fma_f32 v6, -v1, v4, v0
	v_fma_f32 v7, v8, v4, -v7
                                        ; implicit-def: $vgpr0
	v_fma_f32 v4, -v3, v8, v9
	v_fmac_f32_e32 v5, v1, v3
	v_fmac_f32_e32 v6, v3, v8
	;; [unrolled: 1-line block ×3, first 2 shown]
	ds_write_b64 v62, v[4:5]
	ds_write_b64 v2, v[6:7] offset:4368
.LBB0_14:
	s_andn2_saveexec_b32 s0, s5
	s_cbranch_execz .LBB0_16
; %bb.15:
	ds_write_b64 v62, v[0:1]
	ds_read_b64 v[0:1], v60 offset:2184
	s_waitcnt lgkmcnt(0)
	v_add_f32_e32 v0, v0, v0
	v_mul_f32_e32 v1, -2.0, v1
	ds_write_b64 v60, v[0:1] offset:2184
.LBB0_16:
	s_or_b32 exec_lo, exec_lo, s0
	v_mov_b32_e32 v49, 0
	v_lshl_add_u32 v63, v48, 3, 0
	v_lshlrev_b64 v[54:55], 3, v[48:49]
	v_add_nc_u32_e32 v49, v63, v64
	v_add_nc_u32_e32 v65, 0x800, v49
	v_add_co_u32 v0, s0, s1, v54
	v_add_co_ci_u32_e64 v1, s0, s4, v55, s0
	s_mov_b32 s1, exec_lo
	s_clause 0x5
	global_load_dwordx2 v[3:4], v[0:1], off offset:312
	global_load_dwordx2 v[5:6], v[0:1], off offset:624
	;; [unrolled: 1-line block ×6, first 2 shown]
	ds_read_b64 v[13:14], v62 offset:312
	ds_read_b64 v[15:16], v2 offset:4056
	s_waitcnt lgkmcnt(0)
	v_add_f32_e32 v17, v13, v15
	v_add_f32_e32 v18, v16, v14
	v_sub_f32_e32 v19, v13, v15
	v_sub_f32_e32 v13, v14, v16
	s_waitcnt vmcnt(5)
	v_fma_f32 v20, v19, v4, v17
	v_fma_f32 v14, v18, v4, v13
	v_fma_f32 v15, -v19, v4, v17
	v_fma_f32 v16, v18, v4, -v13
	v_fma_f32 v13, -v3, v18, v20
	v_fmac_f32_e32 v14, v19, v3
	v_fmac_f32_e32 v15, v3, v18
	v_fmac_f32_e32 v16, v19, v3
	ds_write_b64 v62, v[13:14] offset:312
	ds_write_b64 v2, v[15:16] offset:4056
	ds_read_b64 v[3:4], v62 offset:624
	ds_read_b64 v[13:14], v2 offset:3744
	s_waitcnt lgkmcnt(0)
	v_add_f32_e32 v15, v3, v13
	v_add_f32_e32 v16, v14, v4
	v_sub_f32_e32 v17, v3, v13
	v_sub_f32_e32 v3, v4, v14
	s_waitcnt vmcnt(4)
	v_fma_f32 v18, v17, v6, v15
	v_fma_f32 v4, v16, v6, v3
	v_fma_f32 v13, -v17, v6, v15
	v_fma_f32 v14, v16, v6, -v3
	v_fma_f32 v3, -v5, v16, v18
	v_fmac_f32_e32 v4, v17, v5
	v_fmac_f32_e32 v13, v5, v16
	v_fmac_f32_e32 v14, v17, v5
	ds_write_b64 v62, v[3:4] offset:624
	ds_write_b64 v2, v[13:14] offset:3744
	;; [unrolled: 18-line block ×6, first 2 shown]
	s_waitcnt lgkmcnt(0)
	s_barrier
	buffer_gl0_inv
	s_barrier
	buffer_gl0_inv
	ds_read2_b64 v[0:3], v49 offset0:39 offset1:42
	ds_read_b64 v[56:57], v62
	v_mul_u32_u24_e32 v4, 0x68, v48
	ds_read2_b64 v[44:47], v49 offset0:81 offset1:84
	ds_read2_b64 v[40:43], v49 offset0:123 offset1:126
	;; [unrolled: 1-line block ×3, first 2 shown]
	v_add3_u32 v83, 0, v4, v64
	ds_read2_b64 v[32:35], v49 offset0:207 offset1:210
	ds_read2_b64 v[36:39], v49 offset0:165 offset1:168
	;; [unrolled: 1-line block ×3, first 2 shown]
	ds_read_b64 v[58:59], v49 offset:4344
	ds_read2_b64 v[20:23], v65 offset0:77 offset1:80
	ds_read2_b64 v[24:27], v65 offset0:35 offset1:38
	;; [unrolled: 1-line block ×5, first 2 shown]
	s_waitcnt lgkmcnt(0)
	s_barrier
	buffer_gl0_inv
	v_add_f32_e32 v100, v56, v2
	v_add_f32_e32 v102, v57, v3
	;; [unrolled: 1-line block ×6, first 2 shown]
	v_sub_f32_e32 v129, v3, v7
	v_add_f32_e32 v137, v7, v3
	v_add_f32_e32 v174, v102, v47
	;; [unrolled: 1-line block ×3, first 2 shown]
	v_sub_f32_e32 v90, v42, v10
	v_sub_f32_e32 v101, v43, v11
	;; [unrolled: 1-line block ×4, first 2 shown]
	v_add_f32_e32 v98, v6, v2
	v_sub_f32_e32 v134, v47, v15
	v_sub_f32_e32 v3, v2, v6
	v_add_f32_e32 v162, v15, v47
	v_add_f32_e32 v175, v103, v40
	v_add_f32_e32 v176, v104, v41
	v_mul_f32_e32 v157, 0xbf52af12, v129
	v_mul_f32_e32 v127, 0x3f116cb1, v137
	;; [unrolled: 1-line block ×9, first 2 shown]
	v_add_f32_e32 v42, v173, v42
	v_add_f32_e32 v43, v174, v43
	;; [unrolled: 1-line block ×3, first 2 shown]
	v_sub_f32_e32 v118, v35, v23
	v_add_f32_e32 v93, v26, v30
	v_add_f32_e32 v177, v27, v31
	;; [unrolled: 1-line block ×4, first 2 shown]
	v_sub_f32_e32 v96, v38, v18
	v_add_f32_e32 v97, v14, v46
	v_sub_f32_e32 v2, v46, v14
	v_add_f32_e32 v78, v12, v36
	v_add_f32_e32 v85, v13, v37
	v_sub_f32_e32 v80, v36, v12
	v_sub_f32_e32 v84, v37, v13
	v_add_f32_e32 v82, v58, v44
	v_sub_f32_e32 v44, v44, v58
	v_mul_f32_e32 v139, 0xbf6f5d39, v134
	v_mul_f32_e32 v120, 0xbeb58ec6, v162
	;; [unrolled: 1-line block ×33, first 2 shown]
	v_add_f32_e32 v36, v175, v36
	v_add_f32_e32 v37, v176, v37
	v_fmamk_f32 v173, v98, 0x3f116cb1, v157
	v_fmamk_f32 v175, v3, 0x3f52af12, v127
	;; [unrolled: 1-line block ×8, first 2 shown]
	v_fmac_f32_e32 v135, 0xbe750f2a, v3
	v_fmamk_f32 v233, v98, 0x3f62ad3f, v166
	v_fma_f32 v159, 0xbeb58ec6, v98, -v159
	v_fmac_f32_e32 v127, 0xbf52af12, v3
	v_fmac_f32_e32 v130, 0xbf7e222b, v3
	;; [unrolled: 1-line block ×3, first 2 shown]
	v_add_f32_e32 v38, v42, v38
	v_add_f32_e32 v39, v43, v39
	;; [unrolled: 1-line block ×4, first 2 shown]
	v_sub_f32_e32 v70, v32, v8
	v_sub_f32_e32 v73, v33, v9
	v_add_f32_e32 v91, v22, v34
	v_sub_f32_e32 v92, v34, v22
	v_add_f32_e32 v88, v59, v45
	v_mul_f32_e32 v114, 0xbf788fa5, v99
	v_mul_f32_e32 v109, 0xbf3f9e67, v123
	;; [unrolled: 1-line block ×31, first 2 shown]
	v_fmamk_f32 v174, v97, 0xbeb58ec6, v139
	v_fmamk_f32 v176, v2, 0x3f6f5d39, v120
	;; [unrolled: 1-line block ×16, first 2 shown]
	v_fma_f32 v167, 0xbf788fa5, v98, -v167
	v_fmac_f32_e32 v132, 0x3eedf032, v2
	v_fma_f32 v169, 0xbf3f9e67, v89, -v169
	v_fmamk_f32 v234, v97, 0x3f116cb1, v161
	v_fmamk_f32 v235, v3, 0x3eedf032, v137
	;; [unrolled: 1-line block ×6, first 2 shown]
	v_fma_f32 v166, 0x3f62ad3f, v98, -v166
	v_fma_f32 v157, 0x3f116cb1, v98, -v157
	;; [unrolled: 1-line block ×4, first 2 shown]
	v_fmac_f32_e32 v137, 0xbeedf032, v3
	v_fmac_f32_e32 v133, 0xbf29c268, v3
	v_fma_f32 v3, 0x3f116cb1, v97, -v161
	v_fmac_f32_e32 v134, 0xbf52af12, v2
	v_fma_f32 v160, 0x3df6dbef, v89, -v162
	v_fma_f32 v161, 0xbeb58ec6, v95, -v163
	;; [unrolled: 1-line block ×3, first 2 shown]
	v_fmac_f32_e32 v120, 0xbf6f5d39, v2
	v_fma_f32 v140, 0xbf788fa5, v89, -v140
	v_fmac_f32_e32 v124, 0xbe750f2a, v2
	v_fma_f32 v146, 0xbeb58ec6, v89, -v146
	v_fma_f32 v151, 0xbf3f9e67, v97, -v151
	v_fmac_f32_e32 v125, 0x3f29c268, v2
	v_fmac_f32_e32 v128, 0x3f7e222b, v2
	v_fma_f32 v2, 0x3f62ad3f, v89, -v147
	v_fma_f32 v89, 0x3f116cb1, v89, -v155
	v_add_f32_e32 v32, v36, v32
	v_add_f32_e32 v33, v37, v33
	;; [unrolled: 1-line block ×16, first 2 shown]
	v_sub_f32_e32 v94, v30, v26
	v_add_f32_e32 v69, v16, v28
	v_add_f32_e32 v77, v17, v29
	v_sub_f32_e32 v71, v28, v16
	v_sub_f32_e32 v76, v29, v17
	v_fmamk_f32 v178, v90, 0x3e750f2a, v114
	v_fmamk_f32 v179, v95, 0xbf3f9e67, v141
	;; [unrolled: 1-line block ×31, first 2 shown]
	v_fma_f32 v168, 0x3f62ad3f, v97, -v168
	v_fmac_f32_e32 v126, 0xbf29c268, v90
	v_fma_f32 v170, 0x3f116cb1, v95, -v170
	v_fmac_f32_e32 v121, 0x3f52af12, v96
	;; [unrolled: 2-line block ×3, first 2 shown]
	v_fma_f32 v172, 0x3df6dbef, v93, -v172
	v_fmamk_f32 v238, v90, 0x3f7e222b, v129
	v_fmamk_f32 v240, v96, 0x3f6f5d39, v123
	;; [unrolled: 1-line block ×4, first 2 shown]
	v_fmac_f32_e32 v129, 0xbf7e222b, v90
	v_fmac_f32_e32 v123, 0xbf6f5d39, v96
	v_fma_f32 v162, 0xbf3f9e67, v91, -v164
	v_fmac_f32_e32 v118, 0xbf29c268, v92
	v_fma_f32 v139, 0xbeb58ec6, v97, -v139
	;; [unrolled: 2-line block ×5, first 2 shown]
	v_fma_f32 v145, 0xbf788fa5, v97, -v145
	v_fmac_f32_e32 v117, 0x3f6f5d39, v90
	v_fma_f32 v148, 0x3f62ad3f, v95, -v148
	v_fmac_f32_e32 v111, 0x3eedf032, v96
	;; [unrolled: 2-line block ×3, first 2 shown]
	v_fma_f32 v150, 0xbf3f9e67, v93, -v150
	v_fma_f32 v97, 0x3df6dbef, v97, -v156
	v_fmac_f32_e32 v119, 0x3eedf032, v90
	v_fmac_f32_e32 v122, 0xbf52af12, v90
	v_fma_f32 v90, 0x3df6dbef, v95, -v142
	v_fma_f32 v95, 0xbf788fa5, v95, -v154
	v_fmac_f32_e32 v113, 0xbf7e222b, v96
	v_fmac_f32_e32 v116, 0x3e750f2a, v96
	;; [unrolled: 4-line block ×3, first 2 shown]
	v_fma_f32 v92, 0x3f116cb1, v93, -v136
	v_fma_f32 v93, 0xbeb58ec6, v93, -v152
	;; [unrolled: 1-line block ×3, first 2 shown]
	v_add_f32_e32 v152, v57, v199
	v_add_f32_e32 v153, v56, v209
	;; [unrolled: 1-line block ×30, first 2 shown]
	v_sub_f32_e32 v67, v24, v20
	v_sub_f32_e32 v72, v25, v21
	v_add_f32_e32 v98, v1, v136
	v_add_f32_e32 v39, v200, v152
	v_add_f32_e32 v43, v212, v154
	v_add_f32_e32 v136, v224, v156
	v_add_f32_e32 v152, v236, v167
	v_add_f32_e32 v134, v134, v137
	v_add_f32_e32 v137, v139, v157
	v_add_f32_e32 v127, v145, v158
	v_add_f32_e32 v56, v97, v56
	v_add_f32_e32 v24, v28, v24
	v_add_f32_e32 v25, v29, v25
	v_add_f32_e32 v28, v177, v32
	v_add_f32_e32 v29, v178, v33
	v_add_f32_e32 v32, v189, v36
	v_add_f32_e32 v33, v190, v37
	v_add_f32_e32 v34, v201, v38
	v_add_f32_e32 v38, v225, v133
	v_add_f32_e32 v97, v237, v135
	v_add_f32_e32 v114, v114, v120
	v_add_f32_e32 v2, v2, v130
	v_add_f32_e32 v119, v119, v125
	v_add_f32_e32 v26, v30, v26
	v_add_f32_e32 v27, v31, v27
	v_sub_f32_e32 v45, v45, v59
	v_add_f32_e32 v57, v128, v57
	v_add_f32_e32 v35, v202, v39
	;; [unrolled: 1-line block ×25, first 2 shown]
	v_sub_f32_e32 v81, v40, v4
	v_sub_f32_e32 v86, v41, v5
	v_mul_f32_e32 v41, 0xbeedf032, v45
	v_fmamk_f32 v184, v94, 0xbeedf032, v104
	v_fmamk_f32 v196, v94, 0x3f29c268, v105
	v_add_f32_e32 v42, v210, v153
	v_add_f32_e32 v31, v204, v35
	;; [unrolled: 1-line block ×23, first 2 shown]
	v_mul_f32_e32 v40, 0xbf52af12, v86
	v_mul_f32_e32 v46, 0xbf52af12, v81
	v_fmamk_f32 v208, v94, 0xbf52af12, v100
	v_fmamk_f32 v220, v94, 0x3f6f5d39, v102
	v_fmamk_f32 v232, v94, 0xbf7e222b, v110
	v_fmac_f32_e32 v110, 0x3f7e222b, v94
	v_fmamk_f32 v244, v94, 0x3e750f2a, v112
	v_fmac_f32_e32 v112, 0xbe750f2a, v94
	v_fmac_f32_e32 v104, 0x3eedf032, v94
	v_fmac_f32_e32 v105, 0xbf29c268, v94
	v_fmac_f32_e32 v100, 0x3f52af12, v94
	v_fmac_f32_e32 v102, 0xbf6f5d39, v94
	v_fmamk_f32 v94, v82, 0x3f62ad3f, v41
	v_add_f32_e32 v36, v213, v42
	v_add_f32_e32 v27, v206, v31
	;; [unrolled: 1-line block ×17, first 2 shown]
	v_mul_f32_e32 v99, 0xbf7e222b, v84
	v_mul_f32_e32 v101, 0xbf7e222b, v80
	v_fmamk_f32 v138, v79, 0x3f116cb1, v40
	v_fma_f32 v142, 0x3f116cb1, v87, -v46
	v_add_f32_e32 v94, v0, v94
	v_add_f32_e32 v32, v215, v36
	ds_write2_b64 v83, v[8:9], v[16:17] offset0:2 offset1:3
	v_add_f32_e32 v8, v96, v12
	v_add_f32_e32 v9, v97, v13
	;; [unrolled: 1-line block ×13, first 2 shown]
	v_fmamk_f32 v11, v78, 0x3df6dbef, v99
	v_fma_f32 v12, 0x3df6dbef, v85, -v101
	v_mul_f32_e32 v8, 0xbf6f5d39, v73
	v_mul_f32_e32 v9, 0xbf6f5d39, v70
	v_add_f32_e32 v42, v169, v147
	v_add_f32_e32 v3, v160, v3
	;; [unrolled: 1-line block ×8, first 2 shown]
	v_fmamk_f32 v14, v68, 0xbeb58ec6, v8
	v_fma_f32 v15, 0xbeb58ec6, v75, -v9
	v_mul_f32_e32 v10, 0xbf29c268, v76
	v_mul_f32_e32 v11, 0xbf29c268, v71
	v_add_f32_e32 v57, v122, v57
	v_add_f32_e32 v117, v117, v124
	;; [unrolled: 1-line block ×5, first 2 shown]
	ds_write2_b64 v83, v[18:19], v[20:21] offset0:4 offset1:5
	v_add_f32_e32 v18, v14, v13
	v_add_f32_e32 v15, v15, v12
	v_fmamk_f32 v19, v69, 0xbf3f9e67, v10
	v_fma_f32 v20, 0xbf3f9e67, v77, -v11
	v_mul_f32_e32 v12, 0xbe750f2a, v72
	v_mul_f32_e32 v13, 0xbe750f2a, v67
	v_add_f32_e32 v57, v116, v57
	v_add_f32_e32 v109, v111, v117
	;; [unrolled: 1-line block ×7, first 2 shown]
	v_fmamk_f32 v20, v66, 0xbf788fa5, v12
	v_fma_f32 v21, 0xbf788fa5, v74, -v13
	v_add_f32_e32 v16, v91, v56
	v_add_f32_e32 v17, v103, v57
	;; [unrolled: 1-line block ×15, first 2 shown]
	v_add_nc_u32_e32 v30, 39, v48
	v_add_f32_e32 v14, v92, v43
	v_add_f32_e32 v15, v100, v89
	;; [unrolled: 1-line block ×8, first 2 shown]
	ds_write2_b64 v83, v[22:23], v[24:25] offset0:6 offset1:7
	ds_write2_b64 v83, v[6:7], v[28:29] offset1:1
	ds_write2_b64 v83, v[16:17], v[14:15] offset0:8 offset1:9
	ds_write2_b64 v83, v[33:34], v[31:32] offset0:10 offset1:11
	ds_write_b64 v83, v[2:3] offset:96
	v_cmpx_gt_u32_e32 3, v48
	s_cbranch_execz .LBB0_18
; %bb.17:
	v_mul_f32_e32 v35, 0xbf788fa5, v88
	v_mul_f32_e32 v37, 0x3f62ad3f, v87
	;; [unrolled: 1-line block ×5, first 2 shown]
	v_fmamk_f32 v6, v44, 0x3e750f2a, v35
	v_fmamk_f32 v7, v81, 0xbeedf032, v37
	;; [unrolled: 1-line block ×3, first 2 shown]
	v_mul_f32_e32 v43, 0x3f116cb1, v75
	v_fmamk_f32 v29, v79, 0x3f62ad3f, v42
	v_add_f32_e32 v6, v1, v6
	v_mul_f32_e32 v56, 0xbf29c268, v84
	v_add_f32_e32 v28, v0, v28
	v_mul_f32_e32 v57, 0xbeb58ec6, v77
	v_mul_f32_e32 v58, 0x3f52af12, v73
	v_add_f32_e32 v6, v7, v6
	v_fmamk_f32 v7, v80, 0x3f29c268, v39
	v_add_f32_e32 v28, v29, v28
	v_fmamk_f32 v29, v78, 0xbf3f9e67, v56
	v_mul_f32_e32 v59, 0x3df6dbef, v74
	v_mul_f32_e32 v83, 0xbf6f5d39, v76
	v_add_f32_e32 v6, v7, v6
	v_fmamk_f32 v7, v70, 0xbf52af12, v43
	v_add_f32_e32 v28, v29, v28
	v_fmamk_f32 v29, v68, 0x3f116cb1, v58
	;; [unrolled: 6-line block ×4, first 2 shown]
	v_fmamk_f32 v32, v81, 0xbf7e222b, v91
	v_mul_f32_e32 v93, 0x3f116cb1, v85
	v_add_f32_e32 v7, v7, v6
	v_fmamk_f32 v6, v44, 0x3f29c268, v89
	v_mul_f32_e32 v94, 0x3f7e222b, v86
	v_mul_f32_e32 v95, 0xbf788fa5, v75
	;; [unrolled: 1-line block ×4, first 2 shown]
	v_add_f32_e32 v31, v1, v6
	v_add_f32_e32 v6, v29, v28
	v_fmamk_f32 v28, v82, 0xbf3f9e67, v92
	v_mul_f32_e32 v98, 0x3e750f2a, v73
	v_mul_f32_e32 v100, 0xbeb58ec6, v74
	v_add_f32_e32 v29, v32, v31
	v_fmamk_f32 v31, v80, 0x3f52af12, v93
	v_add_f32_e32 v28, v0, v28
	v_fmamk_f32 v32, v79, 0x3df6dbef, v94
	v_mul_f32_e32 v102, 0x3eedf032, v76
	v_mul_f32_e32 v103, 0xbeb58ec6, v88
	v_add_f32_e32 v29, v31, v29
	v_fmamk_f32 v31, v70, 0xbe750f2a, v95
	v_add_f32_e32 v28, v32, v28
	v_fmamk_f32 v32, v78, 0x3f116cb1, v96
	v_mul_f32_e32 v104, 0xbf6f5d39, v72
	v_mul_f32_e32 v105, 0xbf3f9e67, v87
	v_add_f32_e32 v29, v31, v29
	v_fmamk_f32 v31, v71, 0xbeedf032, v97
	v_add_f32_e32 v28, v32, v28
	v_fmamk_f32 v32, v68, 0xbf788fa5, v98
	v_mul_f32_e32 v106, 0xbf6f5d39, v45
	v_fmamk_f32 v33, v81, 0xbf29c268, v105
	v_add_f32_e32 v29, v31, v29
	v_fmamk_f32 v31, v67, 0x3f6f5d39, v100
	v_add_f32_e32 v28, v32, v28
	v_fmamk_f32 v32, v69, 0x3f62ad3f, v102
	v_mul_f32_e32 v107, 0x3f62ad3f, v85
	v_mul_f32_e32 v108, 0x3f29c268, v86
	v_add_f32_e32 v29, v31, v29
	v_fmamk_f32 v31, v44, 0x3f6f5d39, v103
	v_add_f32_e32 v28, v32, v28
	v_fmamk_f32 v32, v66, 0xbeb58ec6, v104
	v_mul_f32_e32 v109, 0x3df6dbef, v75
	v_fmamk_f32 v34, v79, 0xbf3f9e67, v108
	v_add_f32_e32 v31, v1, v31
	v_mul_f32_e32 v110, 0x3eedf032, v84
	v_add_f32_e32 v28, v32, v28
	v_fmamk_f32 v32, v82, 0xbeb58ec6, v106
	v_mul_f32_e32 v111, 0xbf788fa5, v77
	v_add_f32_e32 v31, v33, v31
	v_fmamk_f32 v33, v80, 0xbeedf032, v107
	v_mul_f32_e32 v112, 0xbf7e222b, v73
	v_add_f32_e32 v32, v0, v32
	v_mul_f32_e32 v113, 0x3f116cb1, v74
	v_mul_f32_e32 v114, 0x3e750f2a, v76
	v_add_f32_e32 v31, v33, v31
	v_fmamk_f32 v33, v70, 0x3f7e222b, v109
	v_add_f32_e32 v32, v34, v32
	v_fmamk_f32 v34, v78, 0x3f62ad3f, v110
	v_mul_f32_e32 v115, 0x3df6dbef, v88
	v_fmamk_f32 v36, v69, 0xbf788fa5, v114
	v_add_f32_e32 v31, v33, v31
	v_fmamk_f32 v33, v71, 0xbe750f2a, v111
	v_add_f32_e32 v32, v34, v32
	v_fmamk_f32 v34, v68, 0x3df6dbef, v112
	v_mul_f32_e32 v116, 0x3f52af12, v72
	v_mul_f32_e32 v117, 0xbf788fa5, v87
	v_add_f32_e32 v31, v33, v31
	v_fmamk_f32 v33, v67, 0xbf52af12, v113
	v_add_f32_e32 v34, v34, v32
	v_mul_f32_e32 v118, 0xbf7e222b, v45
	v_fmamk_f32 v119, v81, 0x3e750f2a, v117
	v_mul_f32_e32 v120, 0xbeb58ec6, v85
	v_add_f32_e32 v32, v33, v31
	v_fmamk_f32 v31, v44, 0x3f7e222b, v115
	v_add_f32_e32 v33, v36, v34
	v_fmamk_f32 v34, v66, 0x3f116cb1, v116
	v_mul_f32_e32 v121, 0xbe750f2a, v86
	v_mul_f32_e32 v123, 0x3f6f5d39, v84
	v_add_f32_e32 v36, v1, v31
	v_mul_f32_e32 v124, 0x3f116cb1, v77
	v_add_f32_e32 v31, v34, v33
	v_fmamk_f32 v33, v82, 0x3df6dbef, v118
	v_fmamk_f32 v122, v79, 0xbf788fa5, v121
	v_add_f32_e32 v34, v119, v36
	v_fmamk_f32 v36, v80, 0xbf6f5d39, v120
	v_mul_f32_e32 v119, 0x3f62ad3f, v75
	v_add_f32_e32 v33, v0, v33
	v_mul_f32_e32 v125, 0x3eedf032, v73
	v_mul_f32_e32 v126, 0xbf3f9e67, v74
	v_add_f32_e32 v34, v36, v34
	v_fmamk_f32 v36, v70, 0xbeedf032, v119
	v_add_f32_e32 v33, v122, v33
	v_fmamk_f32 v122, v78, 0xbeb58ec6, v123
	v_mul_f32_e32 v127, 0xbf52af12, v76
	v_mul_f32_e32 v25, 0x3f62ad3f, v88
	v_add_f32_e32 v34, v36, v34
	v_fmamk_f32 v36, v71, 0x3f52af12, v124
	v_add_f32_e32 v33, v122, v33
	v_fmamk_f32 v122, v68, 0x3f62ad3f, v125
	;; [unrolled: 6-line block ×4, first 2 shown]
	v_mul_f32_e32 v129, 0xbf52af12, v45
	v_fmac_f32_e32 v35, 0xbe750f2a, v44
	v_mul_f32_e32 v23, 0x3df6dbef, v85
	v_add_f32_e32 v36, v1, v36
	v_fmamk_f32 v45, v81, 0x3f6f5d39, v87
	v_mul_f32_e32 v85, 0xbf788fa5, v85
	v_add_f32_e32 v33, v122, v33
	v_fmamk_f32 v122, v82, 0x3f116cb1, v129
	v_mul_f32_e32 v86, 0xbf6f5d39, v86
	v_add_f32_e32 v35, v1, v35
	v_fmac_f32_e32 v37, 0x3eedf032, v81
	v_fma_f32 v38, 0xbf788fa5, v82, -v38
	v_mul_f32_e32 v21, 0xbeb58ec6, v75
	v_add_f32_e32 v36, v45, v36
	v_fmamk_f32 v45, v80, 0x3e750f2a, v85
	v_mul_f32_e32 v75, 0xbf3f9e67, v75
	v_add_f32_e32 v122, v0, v122
	v_fmamk_f32 v130, v79, 0xbeb58ec6, v86
	v_mul_f32_e32 v84, 0xbe750f2a, v84
	v_add_f32_e32 v37, v37, v35
	v_fmac_f32_e32 v39, 0xbf29c268, v80
	v_add_f32_e32 v38, v0, v38
	v_fma_f32 v42, 0x3f62ad3f, v79, -v42
	v_fmac_f32_e32 v89, 0xbf29c268, v44
	v_mul_f32_e32 v19, 0xbf3f9e67, v77
	v_add_f32_e32 v36, v45, v36
	v_fmamk_f32 v45, v70, 0xbf29c268, v75
	v_mul_f32_e32 v77, 0x3df6dbef, v77
	v_add_f32_e32 v122, v130, v122
	v_fmamk_f32 v130, v78, 0xbf788fa5, v84
	v_mul_f32_e32 v73, 0x3f29c268, v73
	v_add_f32_e32 v37, v39, v37
	v_fmac_f32_e32 v43, 0x3f52af12, v70
	v_add_f32_e32 v38, v42, v38
	v_fma_f32 v39, 0xbf3f9e67, v78, -v56
	v_add_f32_e32 v42, v1, v89
	v_fmac_f32_e32 v91, 0x3f7e222b, v81
	v_mul_f32_e32 v24, 0xbf788fa5, v74
	v_add_f32_e32 v36, v45, v36
	v_fmamk_f32 v45, v71, 0xbf7e222b, v77
	v_mul_f32_e32 v74, 0x3f62ad3f, v74
	v_add_f32_e32 v122, v130, v122
	v_fmamk_f32 v130, v68, 0xbf3f9e67, v73
	v_mul_f32_e32 v76, 0x3f7e222b, v76
	v_add_f32_e32 v37, v43, v37
	v_fmac_f32_e32 v57, 0xbf6f5d39, v71
	v_add_f32_e32 v38, v39, v38
	v_fma_f32 v39, 0x3f116cb1, v68, -v58
	v_add_f32_e32 v42, v91, v42
	v_fmac_f32_e32 v93, 0xbf52af12, v80
	v_add_f32_e32 v36, v45, v36
	v_fmamk_f32 v45, v67, 0xbeedf032, v74
	v_add_f32_e32 v122, v130, v122
	v_fmamk_f32 v130, v69, 0x3df6dbef, v76
	v_mul_f32_e32 v72, 0x3eedf032, v72
	v_add_f32_e32 v37, v57, v37
	v_fmac_f32_e32 v59, 0x3f7e222b, v67
	v_add_f32_e32 v39, v39, v38
	v_fma_f32 v43, 0xbeb58ec6, v69, -v83
	v_add_f32_e32 v42, v93, v42
	v_fmac_f32_e32 v95, 0x3e750f2a, v70
	v_add_f32_e32 v36, v45, v36
	v_add_f32_e32 v45, v130, v122
	v_fmamk_f32 v122, v66, 0x3f62ad3f, v72
	v_add_f32_e32 v38, v59, v37
	v_fma_f32 v37, 0xbf3f9e67, v82, -v92
	v_add_f32_e32 v39, v43, v39
	v_fma_f32 v43, 0x3df6dbef, v66, -v90
	v_add_f32_e32 v42, v95, v42
	v_fmac_f32_e32 v97, 0x3eedf032, v71
	v_add_f32_e32 v35, v122, v45
	v_add_f32_e32 v45, v0, v37
	v_fma_f32 v56, 0x3df6dbef, v79, -v94
	v_add_f32_e32 v37, v43, v39
	v_fmac_f32_e32 v103, 0xbf6f5d39, v44
	v_add_f32_e32 v39, v97, v42
	v_fmac_f32_e32 v100, 0xbf6f5d39, v67
	v_add_f32_e32 v42, v56, v45
	v_fma_f32 v45, 0x3f116cb1, v78, -v96
	v_add_f32_e32 v56, v1, v103
	v_fmac_f32_e32 v105, 0x3f29c268, v81
	v_add_f32_e32 v43, v100, v39
	v_fma_f32 v39, 0xbeb58ec6, v82, -v106
	v_add_f32_e32 v42, v45, v42
	v_fma_f32 v45, 0xbf788fa5, v68, -v98
	v_add_f32_e32 v56, v105, v56
	v_fmac_f32_e32 v107, 0x3eedf032, v80
	v_add_f32_e32 v39, v0, v39
	v_fma_f32 v57, 0xbf3f9e67, v79, -v108
	;; [unrolled: 6-line block ×4, first 2 shown]
	v_fmac_f32_e32 v115, 0xbf7e222b, v44
	v_add_f32_e32 v42, v45, v42
	v_add_f32_e32 v45, v111, v56
	v_fmac_f32_e32 v113, 0x3f52af12, v67
	v_add_f32_e32 v39, v57, v39
	v_fma_f32 v56, 0xbf788fa5, v69, -v114
	v_add_f32_e32 v58, v1, v115
	v_fmac_f32_e32 v117, 0xbe750f2a, v81
	v_add_f32_e32 v57, v113, v45
	v_fma_f32 v45, 0x3df6dbef, v82, -v118
	v_add_f32_e32 v39, v56, v39
	v_fma_f32 v56, 0x3f116cb1, v66, -v116
	v_add_f32_e32 v58, v117, v58
	v_fmac_f32_e32 v120, 0x3f6f5d39, v80
	v_add_f32_e32 v45, v0, v45
	v_fma_f32 v59, 0xbf788fa5, v79, -v121
	v_add_f32_e32 v56, v56, v39
	v_fmac_f32_e32 v119, 0x3eedf032, v70
	v_add_f32_e32 v39, v120, v58
	v_fmac_f32_e32 v88, 0xbf52af12, v44
	v_add_f32_e32 v44, v59, v45
	v_fma_f32 v45, 0xbeb58ec6, v78, -v123
	v_fmac_f32_e32 v124, 0xbf52af12, v71
	v_add_f32_e32 v39, v119, v39
	v_mul_f32_e32 v22, 0x3f62ad3f, v82
	v_fmac_f32_e32 v126, 0xbf29c268, v67
	v_add_f32_e32 v44, v45, v44
	v_fma_f32 v45, 0x3f62ad3f, v68, -v125
	v_add_f32_e32 v39, v124, v39
	v_mul_f32_e32 v17, 0x3f116cb1, v79
	v_add_f32_e32 v25, v47, v25
	v_sub_f32_e32 v22, v22, v41
	v_add_f32_e32 v44, v45, v44
	v_add_f32_e32 v45, v126, v39
	v_fma_f32 v39, 0x3f116cb1, v82, -v129
	v_mul_f32_e32 v15, 0x3df6dbef, v78
	v_add_f32_e32 v58, v1, v88
	v_fmac_f32_e32 v87, 0xbf6f5d39, v81
	v_fmac_f32_e32 v75, 0x3f29c268, v70
	v_add_f32_e32 v39, v0, v39
	v_fma_f32 v70, 0xbeb58ec6, v79, -v86
	v_add_f32_e32 v1, v1, v25
	v_add_f32_e32 v20, v46, v20
	;; [unrolled: 1-line block ×3, first 2 shown]
	v_sub_f32_e32 v17, v17, v40
	v_mul_f32_e32 v18, 0xbeb58ec6, v68
	v_add_f32_e32 v58, v87, v58
	v_fmac_f32_e32 v85, 0xbe750f2a, v80
	v_add_f32_e32 v39, v70, v39
	v_fma_f32 v41, 0xbf788fa5, v78, -v84
	v_add_f32_e32 v1, v20, v1
	v_add_f32_e32 v20, v101, v23
	;; [unrolled: 1-line block ×3, first 2 shown]
	v_sub_f32_e32 v15, v15, v99
	v_mul_f32_e32 v16, 0xbf3f9e67, v69
	v_add_f32_e32 v58, v85, v58
	v_add_f32_e32 v22, v41, v39
	v_fma_f32 v25, 0xbf3f9e67, v68, -v73
	v_add_f32_e32 v1, v20, v1
	v_add_f32_e32 v9, v9, v21
	;; [unrolled: 1-line block ×3, first 2 shown]
	v_sub_f32_e32 v8, v18, v8
	v_mul_f32_e32 v14, 0xbf788fa5, v66
	v_fma_f32 v59, 0x3f116cb1, v69, -v127
	v_add_f32_e32 v58, v75, v58
	v_fmac_f32_e32 v77, 0x3f7e222b, v71
	v_add_f32_e32 v17, v25, v22
	v_fma_f32 v22, 0x3df6dbef, v69, -v76
	v_add_f32_e32 v1, v9, v1
	v_add_f32_e32 v9, v11, v19
	;; [unrolled: 1-line block ×3, first 2 shown]
	v_sub_f32_e32 v8, v16, v10
	v_mul_u32_u24_e32 v11, 0x68, v30
	v_add_f32_e32 v44, v59, v44
	v_fma_f32 v59, 0xbf3f9e67, v66, -v128
	v_add_f32_e32 v47, v77, v58
	v_fmac_f32_e32 v74, 0x3eedf032, v67
	v_add_f32_e32 v15, v22, v17
	v_fma_f32 v10, 0x3f62ad3f, v66, -v72
	v_add_f32_e32 v9, v9, v1
	v_add_f32_e32 v13, v13, v24
	;; [unrolled: 1-line block ×3, first 2 shown]
	v_sub_f32_e32 v12, v14, v12
	v_add3_u32 v11, 0, v11, v64
	v_add_f32_e32 v44, v59, v44
	v_add_f32_e32 v1, v74, v47
	;; [unrolled: 1-line block ×5, first 2 shown]
	ds_write2_b64 v11, v[4:5], v[26:27] offset1:1
	ds_write2_b64 v11, v[35:36], v[33:34] offset0:2 offset1:3
	ds_write2_b64 v11, v[31:32], v[28:29] offset0:4 offset1:5
	;; [unrolled: 1-line block ×5, first 2 shown]
	ds_write_b64 v11, v[8:9] offset:96
.LBB0_18:
	s_or_b32 exec_lo, exec_lo, s1
	v_add_nc_u32_e32 v31, 0x400, v49
	s_waitcnt lgkmcnt(0)
	s_barrier
	buffer_gl0_inv
	ds_read2_b64 v[6:9], v49 offset0:117 offset1:182
	ds_read2_b64 v[14:17], v65 offset0:43 offset1:108
	;; [unrolled: 1-line block ×5, first 2 shown]
	ds_read_b64 v[0:1], v62
	ds_read_b64 v[28:29], v49 offset:3848
	v_cmp_gt_u32_e64 s0, 26, v48
	s_and_saveexec_b32 s1, s0
	s_cbranch_execz .LBB0_20
; %bb.19:
	ds_read2_b64 v[2:5], v31 offset0:28 offset1:210
	ds_read_b64 v[26:27], v49 offset:4160
.LBB0_20:
	s_or_b32 exec_lo, exec_lo, s1
	v_and_b32_e32 v31, 0xff, v48
	v_and_b32_e32 v32, 0xff, v30
	v_add_nc_u16 v40, v48, 0x4e
	v_add_nc_u16 v41, v48, 0x75
	v_mul_lo_u16 v31, 0x4f, v31
	v_mul_lo_u16 v32, 0x4f, v32
	v_and_b32_e32 v33, 0xff, v40
	v_and_b32_e32 v34, 0xff, v41
	v_lshrrev_b16 v56, 10, v31
	v_lshrrev_b16 v57, 10, v32
	v_mov_b32_e32 v31, 4
	v_mul_lo_u16 v32, v56, 13
	v_mul_lo_u16 v35, v57, 13
	v_and_b32_e32 v56, 0xffff, v56
	v_and_b32_e32 v57, 0xffff, v57
	v_sub_nc_u16 v58, v48, v32
	v_mul_lo_u16 v32, 0x4f, v33
	v_sub_nc_u16 v59, v30, v35
	v_mul_lo_u16 v33, 0x4f, v34
	v_mad_u32_u24 v56, 0x138, v56, 0
	v_lshlrev_b32_sdwa v30, v31, v58 dst_sel:DWORD dst_unused:UNUSED_PAD src0_sel:DWORD src1_sel:BYTE_0
	v_lshrrev_b16 v65, 10, v32
	v_lshlrev_b32_sdwa v36, v31, v59 dst_sel:DWORD dst_unused:UNUSED_PAD src0_sel:DWORD src1_sel:BYTE_0
	v_lshrrev_b16 v66, 10, v33
	v_mad_u32_u24 v57, 0x138, v57, 0
	s_clause 0x1
	global_load_dwordx4 v[32:35], v30, s[8:9]
	global_load_dwordx4 v[36:39], v36, s[8:9]
	v_mul_lo_u16 v30, v65, 13
	v_mul_lo_u16 v42, v66, 13
	v_and_b32_e32 v65, 0xffff, v65
	v_and_b32_e32 v66, 0xffff, v66
	v_sub_nc_u16 v67, v40, v30
	v_sub_nc_u16 v68, v41, v42
	v_mad_u32_u24 v65, 0x138, v65, 0
	v_mad_u32_u24 v66, 0x138, v66, 0
	v_lshlrev_b32_sdwa v30, v31, v67 dst_sel:DWORD dst_unused:UNUSED_PAD src0_sel:DWORD src1_sel:BYTE_0
	v_lshlrev_b32_sdwa v44, v31, v68 dst_sel:DWORD dst_unused:UNUSED_PAD src0_sel:DWORD src1_sel:BYTE_0
	s_clause 0x1
	global_load_dwordx4 v[40:43], v30, s[8:9]
	global_load_dwordx4 v[44:47], v44, s[8:9]
	v_mov_b32_e32 v30, 3
	s_waitcnt vmcnt(0) lgkmcnt(0)
	s_barrier
	buffer_gl0_inv
	v_lshlrev_b32_sdwa v58, v30, v58 dst_sel:DWORD dst_unused:UNUSED_PAD src0_sel:DWORD src1_sel:BYTE_0
	v_lshlrev_b32_sdwa v59, v30, v59 dst_sel:DWORD dst_unused:UNUSED_PAD src0_sel:DWORD src1_sel:BYTE_0
	v_add3_u32 v56, v56, v58, v64
	v_add3_u32 v57, v57, v59, v64
	v_lshlrev_b32_sdwa v58, v30, v67 dst_sel:DWORD dst_unused:UNUSED_PAD src0_sel:DWORD src1_sel:BYTE_0
	v_lshlrev_b32_sdwa v59, v30, v68 dst_sel:DWORD dst_unused:UNUSED_PAD src0_sel:DWORD src1_sel:BYTE_0
	v_add3_u32 v58, v65, v58, v64
	v_add3_u32 v59, v66, v59, v64
	v_mul_f32_e32 v65, v33, v9
	v_mul_f32_e32 v33, v33, v8
	;; [unrolled: 1-line block ×8, first 2 shown]
	v_fmac_f32_e32 v65, v32, v8
	v_fma_f32 v8, v32, v9, -v33
	v_fmac_f32_e32 v66, v34, v16
	v_fma_f32 v9, v34, v17, -v35
	;; [unrolled: 2-line block ×4, first 2 shown]
	v_mul_f32_e32 v18, v41, v21
	v_mul_f32_e32 v19, v41, v20
	;; [unrolled: 1-line block ×8, first 2 shown]
	v_fmac_f32_e32 v18, v40, v20
	v_fma_f32 v19, v40, v21, -v19
	v_fmac_f32_e32 v22, v42, v24
	v_fma_f32 v21, v42, v25, -v23
	v_fma_f32 v20, v44, v15, -v33
	v_fmac_f32_e32 v34, v28, v46
	v_add_f32_e32 v15, v65, v66
	v_add_f32_e32 v28, v8, v9
	;; [unrolled: 1-line block ×3, first 2 shown]
	v_fmac_f32_e32 v32, v44, v14
	v_fma_f32 v23, v29, v46, -v35
	v_add_f32_e32 v35, v67, v68
	v_sub_f32_e32 v36, v16, v17
	v_add_f32_e32 v16, v16, v17
	v_add_f32_e32 v14, v0, v65
	;; [unrolled: 1-line block ×4, first 2 shown]
	v_fma_f32 v0, -0.5, v15, v0
	v_fmac_f32_e32 v1, -0.5, v28
	v_add_f32_e32 v15, v37, v17
	v_add_f32_e32 v28, v18, v22
	;; [unrolled: 1-line block ×3, first 2 shown]
	v_sub_f32_e32 v24, v8, v9
	v_sub_f32_e32 v29, v65, v66
	v_add_f32_e32 v41, v32, v34
	v_add_f32_e32 v44, v20, v23
	v_sub_f32_e32 v38, v67, v68
	v_fma_f32 v10, -0.5, v35, v10
	v_fma_f32 v11, -0.5, v16, v11
	v_add_f32_e32 v8, v14, v66
	v_add_f32_e32 v9, v25, v9
	;; [unrolled: 1-line block ×4, first 2 shown]
	v_sub_f32_e32 v33, v19, v21
	v_add_f32_e32 v35, v13, v19
	v_sub_f32_e32 v39, v18, v22
	v_fma_f32 v12, -0.5, v28, v12
	v_fmac_f32_e32 v13, -0.5, v37
	v_add_f32_e32 v40, v6, v32
	v_sub_f32_e32 v42, v20, v23
	v_add_f32_e32 v43, v7, v20
	v_sub_f32_e32 v32, v32, v34
	v_fmamk_f32 v16, v24, 0xbf5db3d7, v0
	v_fmamk_f32 v17, v29, 0x3f5db3d7, v1
	v_fma_f32 v6, -0.5, v41, v6
	v_fmac_f32_e32 v7, -0.5, v44
	v_fmac_f32_e32 v0, 0x3f5db3d7, v24
	v_fmac_f32_e32 v1, 0xbf5db3d7, v29
	v_fmamk_f32 v18, v36, 0xbf5db3d7, v10
	v_fmamk_f32 v19, v38, 0x3f5db3d7, v11
	v_fmac_f32_e32 v10, 0x3f5db3d7, v36
	v_fmac_f32_e32 v11, 0xbf5db3d7, v38
	v_add_f32_e32 v20, v25, v22
	v_add_f32_e32 v21, v35, v21
	v_fmamk_f32 v24, v33, 0xbf5db3d7, v12
	v_fmamk_f32 v25, v39, 0x3f5db3d7, v13
	v_add_f32_e32 v22, v40, v34
	v_add_f32_e32 v23, v43, v23
	v_fmac_f32_e32 v12, 0x3f5db3d7, v33
	v_fmac_f32_e32 v13, 0xbf5db3d7, v39
	v_fmamk_f32 v28, v42, 0xbf5db3d7, v6
	v_fmac_f32_e32 v6, 0x3f5db3d7, v42
	v_fmamk_f32 v29, v32, 0x3f5db3d7, v7
	v_fmac_f32_e32 v7, 0xbf5db3d7, v32
	ds_write2_b64 v56, v[8:9], v[16:17] offset1:13
	ds_write_b64 v56, v[0:1] offset:208
	ds_write2_b64 v57, v[14:15], v[18:19] offset1:13
	ds_write_b64 v57, v[10:11] offset:208
	;; [unrolled: 2-line block ×4, first 2 shown]
	s_and_saveexec_b32 s1, s0
	s_cbranch_execz .LBB0_22
; %bb.21:
	v_add_nc_u16 v0, v48, 0x9c
	v_and_b32_e32 v1, 0xff, v0
	v_mul_lo_u16 v1, 0x4f, v1
	v_lshrrev_b16 v1, 10, v1
	v_mul_lo_u16 v6, v1, 13
	v_and_b32_e32 v1, 0xffff, v1
	v_sub_nc_u16 v0, v0, v6
	v_lshlrev_b32_sdwa v6, v31, v0 dst_sel:DWORD dst_unused:UNUSED_PAD src0_sel:DWORD src1_sel:BYTE_0
	global_load_dwordx4 v[6:9], v6, s[8:9]
	s_waitcnt vmcnt(0)
	v_mul_f32_e32 v10, v4, v7
	v_mul_f32_e32 v11, v26, v9
	;; [unrolled: 1-line block ×4, first 2 shown]
	v_fma_f32 v5, v5, v6, -v10
	v_fma_f32 v10, v27, v8, -v11
	v_fmac_f32_e32 v7, v4, v6
	v_fmac_f32_e32 v9, v26, v8
	v_lshlrev_b32_sdwa v6, v30, v0 dst_sel:DWORD dst_unused:UNUSED_PAD src0_sel:DWORD src1_sel:BYTE_0
	v_mad_u32_u24 v4, 0x138, v1, 0
	v_add_f32_e32 v0, v5, v10
	v_sub_f32_e32 v12, v5, v10
	v_add_f32_e32 v11, v7, v9
	v_sub_f32_e32 v8, v7, v9
	v_add_f32_e32 v5, v3, v5
	v_add_f32_e32 v7, v2, v7
	v_fma_f32 v1, -0.5, v0, v3
	v_fma_f32 v0, -0.5, v11, v2
	v_add3_u32 v6, v4, v6, v64
	v_add_f32_e32 v3, v5, v10
	v_add_f32_e32 v2, v7, v9
	v_fmamk_f32 v5, v8, 0xbf5db3d7, v1
	v_fmamk_f32 v4, v12, 0x3f5db3d7, v0
	v_fmac_f32_e32 v1, 0x3f5db3d7, v8
	v_fmac_f32_e32 v0, 0xbf5db3d7, v12
	ds_write2_b64 v6, v[2:3], v[0:1] offset1:13
	ds_write_b64 v6, v[4:5] offset:208
.LBB0_22:
	s_or_b32 exec_lo, exec_lo, s1
	v_mul_u32_u24_e32 v0, 6, v48
	s_waitcnt lgkmcnt(0)
	s_barrier
	buffer_gl0_inv
	v_add_co_u32 v41, s0, s8, v52
	v_lshlrev_b32_e32 v0, 3, v0
	v_add_co_ci_u32_e64 v42, s0, s9, v53, s0
	v_add_co_u32 v43, s0, s8, v54
	s_clause 0x2
	global_load_dwordx4 v[1:4], v0, s[8:9] offset:208
	global_load_dwordx4 v[5:8], v0, s[8:9] offset:224
	;; [unrolled: 1-line block ×3, first 2 shown]
	v_add_nc_u32_e32 v0, 0x800, v49
	ds_read2_b64 v[13:16], v49 offset0:39 offset1:78
	ds_read2_b64 v[17:20], v49 offset0:117 offset1:156
	ds_read2_b64 v[21:24], v49 offset0:195 offset1:234
	ds_read_b64 v[37:38], v62
	ds_read_b64 v[39:40], v49 offset:4056
	ds_read2_b64 v[25:28], v0 offset0:17 offset1:56
	ds_read2_b64 v[29:32], v0 offset0:95 offset1:134
	;; [unrolled: 1-line block ×3, first 2 shown]
	v_add_co_ci_u32_e64 v44, s0, s9, v55, s0
	v_add_co_u32 v41, s0, 0x800, v41
	v_add_co_ci_u32_e64 v42, s0, 0, v42, s0
	v_add_co_u32 v43, s0, 0x800, v43
	v_add_co_ci_u32_e64 v44, s0, 0, v44, s0
	v_add_nc_u32_e32 v45, 0x400, v49
	s_waitcnt vmcnt(0) lgkmcnt(0)
	s_barrier
	buffer_gl0_inv
	v_mul_f32_e32 v46, v2, v16
	v_mul_f32_e32 v47, v2, v15
	;; [unrolled: 1-line block ×24, first 2 shown]
	v_fmac_f32_e32 v46, v1, v15
	v_fma_f32 v15, v1, v16, -v47
	v_fmac_f32_e32 v52, v3, v19
	v_fma_f32 v16, v3, v20, -v53
	;; [unrolled: 2-line block ×12, first 2 shown]
	v_add_f32_e32 v7, v46, v64
	v_add_f32_e32 v8, v15, v24
	;; [unrolled: 1-line block ×4, first 2 shown]
	v_sub_f32_e32 v9, v46, v64
	v_sub_f32_e32 v10, v15, v24
	;; [unrolled: 1-line block ×4, first 2 shown]
	v_add_f32_e32 v17, v54, v56
	v_add_f32_e32 v18, v19, v20
	v_sub_f32_e32 v21, v56, v54
	v_sub_f32_e32 v19, v20, v19
	v_add_f32_e32 v20, v66, v71
	v_add_f32_e32 v22, v1, v6
	v_sub_f32_e32 v1, v1, v6
	v_add_f32_e32 v6, v67, v70
	v_add_f32_e32 v24, v2, v5
	v_sub_f32_e32 v23, v66, v71
	v_sub_f32_e32 v25, v67, v70
	;; [unrolled: 1-line block ×3, first 2 shown]
	v_add_f32_e32 v26, v3, v4
	v_sub_f32_e32 v27, v69, v68
	v_sub_f32_e32 v3, v4, v3
	v_add_f32_e32 v4, v11, v7
	v_add_f32_e32 v28, v12, v8
	;; [unrolled: 1-line block ×3, first 2 shown]
	v_sub_f32_e32 v29, v11, v7
	v_sub_f32_e32 v30, v12, v8
	;; [unrolled: 1-line block ×6, first 2 shown]
	v_add_f32_e32 v31, v21, v15
	v_add_f32_e32 v32, v19, v16
	v_sub_f32_e32 v33, v21, v15
	v_sub_f32_e32 v15, v15, v9
	v_add_f32_e32 v35, v6, v20
	v_add_f32_e32 v36, v24, v22
	v_sub_f32_e32 v34, v19, v16
	v_add_f32_e32 v46, v27, v25
	v_add_f32_e32 v47, v3, v2
	v_sub_f32_e32 v52, v27, v25
	v_sub_f32_e32 v25, v25, v23
	v_add_f32_e32 v17, v17, v4
	v_add_f32_e32 v18, v18, v28
	v_sub_f32_e32 v16, v16, v10
	v_sub_f32_e32 v21, v9, v21
	;; [unrolled: 1-line block ×12, first 2 shown]
	v_add_f32_e32 v10, v32, v10
	v_mul_f32_e32 v3, 0x3f4a47b2, v7
	v_mul_f32_e32 v4, 0x3f4a47b2, v8
	;; [unrolled: 1-line block ×6, first 2 shown]
	v_add_f32_e32 v5, v5, v35
	v_add_f32_e32 v26, v26, v36
	v_sub_f32_e32 v27, v23, v27
	v_add_f32_e32 v9, v31, v9
	v_mul_f32_e32 v31, 0x3f08b237, v34
	v_add_f32_e32 v23, v46, v23
	v_add_f32_e32 v34, v47, v1
	v_mul_f32_e32 v46, 0x3f08b237, v52
	v_mul_f32_e32 v52, 0xbf5ff5aa, v25
	v_add_f32_e32 v1, v17, v37
	v_add_f32_e32 v2, v18, v38
	v_mul_f32_e32 v33, 0xbf5ff5aa, v16
	v_mul_f32_e32 v20, 0x3f4a47b2, v20
	;; [unrolled: 1-line block ×6, first 2 shown]
	v_fmamk_f32 v11, v11, 0x3d64c772, v3
	v_fmamk_f32 v12, v12, 0x3d64c772, v4
	v_fma_f32 v7, 0x3f3bfb3b, v29, -v7
	v_fma_f32 v8, 0x3f3bfb3b, v30, -v8
	v_fma_f32 v29, 0xbf3bfb3b, v29, -v3
	v_fma_f32 v30, 0xbf3bfb3b, v30, -v4
	v_fmamk_f32 v37, v21, 0xbeae86e6, v28
	v_fma_f32 v15, 0xbf5ff5aa, v15, -v28
	v_fma_f32 v21, 0x3eae86e6, v21, -v32
	v_add_f32_e32 v3, v5, v13
	v_add_f32_e32 v4, v26, v14
	v_mul_f32_e32 v35, 0x3d64c772, v6
	v_fmamk_f32 v38, v19, 0xbeae86e6, v31
	v_fmamk_f32 v28, v27, 0xbeae86e6, v46
	v_fma_f32 v25, 0xbf5ff5aa, v25, -v46
	v_fma_f32 v27, 0x3eae86e6, v27, -v52
	v_fmamk_f32 v17, v17, 0xbf955555, v1
	v_fmamk_f32 v18, v18, 0xbf955555, v2
	v_fma_f32 v16, 0xbf5ff5aa, v16, -v31
	v_fma_f32 v19, 0x3eae86e6, v19, -v33
	;; [unrolled: 4-line block ×3, first 2 shown]
	v_fma_f32 v22, 0xbf3bfb3b, v40, -v22
	v_fmamk_f32 v31, v54, 0xbeae86e6, v47
	v_fma_f32 v33, 0x3eae86e6, v54, -v53
	v_fmac_f32_e32 v37, 0xbee1c552, v9
	v_fmac_f32_e32 v15, 0xbee1c552, v9
	;; [unrolled: 1-line block ×3, first 2 shown]
	v_fmamk_f32 v5, v5, 0xbf955555, v3
	v_fmamk_f32 v9, v26, 0xbf955555, v4
	v_fma_f32 v14, 0x3f3bfb3b, v39, -v35
	v_fma_f32 v32, 0xbf5ff5aa, v55, -v47
	v_fmac_f32_e32 v38, 0xbee1c552, v10
	v_fmac_f32_e32 v28, 0xbee1c552, v23
	;; [unrolled: 1-line block ×4, first 2 shown]
	v_add_f32_e32 v23, v11, v17
	v_add_f32_e32 v26, v12, v18
	v_fmac_f32_e32 v16, 0xbee1c552, v10
	v_fmac_f32_e32 v19, 0xbee1c552, v10
	v_add_f32_e32 v11, v7, v17
	v_add_f32_e32 v12, v8, v18
	v_add_f32_e32 v17, v29, v17
	v_add_f32_e32 v18, v30, v18
	v_fmac_f32_e32 v31, 0xbee1c552, v34
	v_fmac_f32_e32 v33, 0xbee1c552, v34
	v_add_f32_e32 v29, v6, v5
	v_add_f32_e32 v30, v13, v9
	;; [unrolled: 1-line block ×5, first 2 shown]
	v_fmac_f32_e32 v32, 0xbee1c552, v34
	v_add_f32_e32 v34, v14, v5
	v_add_f32_e32 v5, v38, v23
	v_sub_f32_e32 v6, v26, v37
	v_add_f32_e32 v7, v19, v17
	v_sub_f32_e32 v8, v18, v21
	v_sub_f32_e32 v9, v11, v16
	v_add_f32_e32 v10, v15, v12
	v_add_f32_e32 v11, v16, v11
	v_sub_f32_e32 v12, v12, v15
	v_sub_f32_e32 v13, v17, v19
	v_add_f32_e32 v14, v21, v18
	v_sub_f32_e32 v15, v23, v38
	v_add_f32_e32 v16, v37, v26
	v_add_f32_e32 v17, v31, v29
	v_sub_f32_e32 v18, v30, v28
	v_add_f32_e32 v19, v33, v35
	v_sub_f32_e32 v20, v36, v27
	;; [unrolled: 2-line block ×3, first 2 shown]
	v_sub_f32_e32 v25, v35, v33
	v_add_f32_e32 v26, v27, v36
	v_sub_f32_e32 v27, v29, v31
	v_add_f32_e32 v28, v28, v30
	;; [unrolled: 2-line block ×3, first 2 shown]
	ds_write2_b64 v49, v[1:2], v[5:6] offset1:39
	ds_write2_b64 v49, v[7:8], v[9:10] offset0:78 offset1:117
	ds_write2_b64 v49, v[11:12], v[13:14] offset0:156 offset1:195
	;; [unrolled: 1-line block ×6, first 2 shown]
	s_waitcnt lgkmcnt(0)
	s_barrier
	buffer_gl0_inv
	s_clause 0x6
	global_load_dwordx2 v[25:26], v[41:42], off offset:32
	global_load_dwordx2 v[27:28], v[43:44], off offset:344
	;; [unrolled: 1-line block ×7, first 2 shown]
	ds_read2_b64 v[1:4], v0 offset0:17 offset1:56
	ds_read2_b64 v[5:8], v0 offset0:95 offset1:134
	;; [unrolled: 1-line block ×3, first 2 shown]
	ds_read_b64 v[39:40], v62
	ds_read_b64 v[41:42], v49 offset:4056
	v_lshl_add_u32 v13, v61, 3, v63
	v_add_nc_u32_e32 v43, 0x800, v13
	ds_read2_b64 v[13:16], v49 offset0:39 offset1:78
	ds_read2_b64 v[17:20], v49 offset0:117 offset1:156
	;; [unrolled: 1-line block ×3, first 2 shown]
	s_waitcnt vmcnt(0) lgkmcnt(0)
	s_barrier
	buffer_gl0_inv
	v_mul_f32_e32 v0, v26, v2
	v_mul_f32_e32 v26, v26, v1
	;; [unrolled: 1-line block ×14, first 2 shown]
	v_fmac_f32_e32 v0, v25, v1
	v_fma_f32 v1, v25, v2, -v26
	v_fmac_f32_e32 v44, v27, v3
	v_fma_f32 v3, v27, v4, -v28
	;; [unrolled: 2-line block ×7, first 2 shown]
	v_sub_f32_e32 v0, v39, v0
	v_sub_f32_e32 v1, v40, v1
	;; [unrolled: 1-line block ×14, first 2 shown]
	v_fma_f32 v27, v39, 2.0, -v0
	v_fma_f32 v28, v40, 2.0, -v1
	;; [unrolled: 1-line block ×14, first 2 shown]
	ds_write2_b64 v43, v[2:3], v[4:5] offset0:56 offset1:95
	ds_write2_b64 v43, v[6:7], v[8:9] offset0:134 offset1:173
	ds_write2_b64 v43, v[10:11], v[25:26] offset0:212 offset1:251
	ds_write2_b64 v49, v[27:28], v[12:13] offset1:39
	ds_write2_b64 v49, v[14:15], v[16:17] offset0:78 offset1:117
	ds_write2_b64 v49, v[18:19], v[20:21] offset0:156 offset1:195
	;; [unrolled: 1-line block ×3, first 2 shown]
	s_waitcnt lgkmcnt(0)
	s_barrier
	buffer_gl0_inv
	s_and_saveexec_b32 s0, vcc_lo
	s_cbranch_execz .LBB0_24
; %bb.23:
	v_lshl_add_u32 v20, v48, 3, v60
	v_mov_b32_e32 v49, 0
	v_add_nc_u32_e32 v8, 39, v48
	v_add_co_u32 v21, vcc_lo, s2, v50
	ds_read2_b64 v[0:3], v20 offset1:39
	v_mov_b32_e32 v9, v49
	v_lshlrev_b64 v[14:15], 3, v[48:49]
	v_add_nc_u32_e32 v10, 0x4e, v48
	v_mov_b32_e32 v11, v49
	v_add_co_ci_u32_e32 v22, vcc_lo, s3, v51, vcc_lo
	v_lshlrev_b64 v[8:9], 3, v[8:9]
	v_add_nc_u32_e32 v12, 0x75, v48
	v_lshlrev_b64 v[16:17], 3, v[10:11]
	v_add_co_u32 v10, vcc_lo, v21, v14
	v_add_co_ci_u32_e32 v11, vcc_lo, v22, v15, vcc_lo
	v_mov_b32_e32 v13, v49
	ds_read2_b64 v[4:7], v20 offset0:78 offset1:117
	v_add_co_u32 v14, vcc_lo, v21, v8
	v_add_co_ci_u32_e32 v15, vcc_lo, v22, v9, vcc_lo
	s_waitcnt lgkmcnt(1)
	global_store_dwordx2 v[10:11], v[0:1], off
	ds_read2_b64 v[8:11], v20 offset0:156 offset1:195
	v_lshlrev_b64 v[0:1], 3, v[12:13]
	v_add_nc_u32_e32 v12, 0x9c, v48
	v_add_co_u32 v16, vcc_lo, v21, v16
	v_add_co_ci_u32_e32 v17, vcc_lo, v22, v17, vcc_lo
	v_lshlrev_b64 v[12:13], 3, v[12:13]
	v_add_co_u32 v0, vcc_lo, v21, v0
	v_add_co_ci_u32_e32 v1, vcc_lo, v22, v1, vcc_lo
	v_add_nc_u32_e32 v18, 0xc3, v48
	v_mov_b32_e32 v19, v49
	v_add_co_u32 v12, vcc_lo, v21, v12
	v_add_co_ci_u32_e32 v13, vcc_lo, v22, v13, vcc_lo
	global_store_dwordx2 v[14:15], v[2:3], off
	s_waitcnt lgkmcnt(1)
	global_store_dwordx2 v[16:17], v[4:5], off
	global_store_dwordx2 v[0:1], v[6:7], off
	s_waitcnt lgkmcnt(0)
	global_store_dwordx2 v[12:13], v[8:9], off
	v_lshlrev_b64 v[0:1], 3, v[18:19]
	v_add_nc_u32_e32 v2, 0x400, v20
	v_add_nc_u32_e32 v4, 0xea, v48
	v_mov_b32_e32 v5, v49
	v_add_nc_u32_e32 v6, 0x111, v48
	v_mov_b32_e32 v7, v49
	v_add_nc_u32_e32 v20, 0x800, v20
	v_add_co_u32 v8, vcc_lo, v21, v0
	v_add_co_ci_u32_e32 v9, vcc_lo, v22, v1, vcc_lo
	ds_read2_b64 v[0:3], v2 offset0:106 offset1:145
	v_lshlrev_b64 v[12:13], 3, v[4:5]
	v_lshlrev_b64 v[14:15], 3, v[6:7]
	ds_read2_b64 v[4:7], v20 offset0:56 offset1:95
	v_add_nc_u32_e32 v16, 0x138, v48
	v_mov_b32_e32 v17, v49
	v_add_nc_u32_e32 v18, 0x15f, v48
	v_add_co_u32 v12, vcc_lo, v21, v12
	v_add_co_ci_u32_e32 v13, vcc_lo, v22, v13, vcc_lo
	v_lshlrev_b64 v[16:17], 3, v[16:17]
	v_add_co_u32 v14, vcc_lo, v21, v14
	v_add_co_ci_u32_e32 v15, vcc_lo, v22, v15, vcc_lo
	v_add_co_u32 v16, vcc_lo, v21, v16
	v_add_co_ci_u32_e32 v17, vcc_lo, v22, v17, vcc_lo
	global_store_dwordx2 v[8:9], v[10:11], off
	s_waitcnt lgkmcnt(1)
	global_store_dwordx2 v[12:13], v[0:1], off
	global_store_dwordx2 v[14:15], v[2:3], off
	s_waitcnt lgkmcnt(0)
	global_store_dwordx2 v[16:17], v[4:5], off
	v_lshlrev_b64 v[0:1], 3, v[18:19]
	v_add_nc_u32_e32 v4, 0x186, v48
	v_mov_b32_e32 v5, v49
	v_add_nc_u32_e32 v8, 0x1ad, v48
	v_mov_b32_e32 v9, v49
	v_add_nc_u32_e32 v16, 0x1d4, v48
	v_add_co_u32 v12, vcc_lo, v21, v0
	v_add_co_ci_u32_e32 v13, vcc_lo, v22, v1, vcc_lo
	ds_read2_b64 v[0:3], v20 offset0:134 offset1:173
	v_lshlrev_b64 v[4:5], 3, v[4:5]
	v_lshlrev_b64 v[14:15], 3, v[8:9]
	v_mov_b32_e32 v17, v49
	ds_read2_b64 v[8:11], v20 offset0:212 offset1:251
	v_add_nc_u32_e32 v48, 0x1fb, v48
	v_add_co_u32 v4, vcc_lo, v21, v4
	v_lshlrev_b64 v[16:17], 3, v[16:17]
	v_add_co_ci_u32_e32 v5, vcc_lo, v22, v5, vcc_lo
	v_add_co_u32 v14, vcc_lo, v21, v14
	v_lshlrev_b64 v[18:19], 3, v[48:49]
	v_add_co_ci_u32_e32 v15, vcc_lo, v22, v15, vcc_lo
	v_add_co_u32 v16, vcc_lo, v21, v16
	v_add_co_ci_u32_e32 v17, vcc_lo, v22, v17, vcc_lo
	v_add_co_u32 v18, vcc_lo, v21, v18
	v_add_co_ci_u32_e32 v19, vcc_lo, v22, v19, vcc_lo
	global_store_dwordx2 v[12:13], v[6:7], off
	s_waitcnt lgkmcnt(1)
	global_store_dwordx2 v[4:5], v[0:1], off
	global_store_dwordx2 v[14:15], v[2:3], off
	s_waitcnt lgkmcnt(0)
	global_store_dwordx2 v[16:17], v[8:9], off
	global_store_dwordx2 v[18:19], v[10:11], off
.LBB0_24:
	s_endpgm
	.section	.rodata,"a",@progbits
	.p2align	6, 0x0
	.amdhsa_kernel fft_rtc_back_len546_factors_13_3_7_2_wgs_117_tpt_39_halfLds_sp_ip_CI_unitstride_sbrr_C2R_dirReg
		.amdhsa_group_segment_fixed_size 0
		.amdhsa_private_segment_fixed_size 0
		.amdhsa_kernarg_size 88
		.amdhsa_user_sgpr_count 6
		.amdhsa_user_sgpr_private_segment_buffer 1
		.amdhsa_user_sgpr_dispatch_ptr 0
		.amdhsa_user_sgpr_queue_ptr 0
		.amdhsa_user_sgpr_kernarg_segment_ptr 1
		.amdhsa_user_sgpr_dispatch_id 0
		.amdhsa_user_sgpr_flat_scratch_init 0
		.amdhsa_user_sgpr_private_segment_size 0
		.amdhsa_wavefront_size32 1
		.amdhsa_uses_dynamic_stack 0
		.amdhsa_system_sgpr_private_segment_wavefront_offset 0
		.amdhsa_system_sgpr_workgroup_id_x 1
		.amdhsa_system_sgpr_workgroup_id_y 0
		.amdhsa_system_sgpr_workgroup_id_z 0
		.amdhsa_system_sgpr_workgroup_info 0
		.amdhsa_system_vgpr_workitem_id 0
		.amdhsa_next_free_vgpr 245
		.amdhsa_next_free_sgpr 21
		.amdhsa_reserve_vcc 1
		.amdhsa_reserve_flat_scratch 0
		.amdhsa_float_round_mode_32 0
		.amdhsa_float_round_mode_16_64 0
		.amdhsa_float_denorm_mode_32 3
		.amdhsa_float_denorm_mode_16_64 3
		.amdhsa_dx10_clamp 1
		.amdhsa_ieee_mode 1
		.amdhsa_fp16_overflow 0
		.amdhsa_workgroup_processor_mode 1
		.amdhsa_memory_ordered 1
		.amdhsa_forward_progress 0
		.amdhsa_shared_vgpr_count 0
		.amdhsa_exception_fp_ieee_invalid_op 0
		.amdhsa_exception_fp_denorm_src 0
		.amdhsa_exception_fp_ieee_div_zero 0
		.amdhsa_exception_fp_ieee_overflow 0
		.amdhsa_exception_fp_ieee_underflow 0
		.amdhsa_exception_fp_ieee_inexact 0
		.amdhsa_exception_int_div_zero 0
	.end_amdhsa_kernel
	.text
.Lfunc_end0:
	.size	fft_rtc_back_len546_factors_13_3_7_2_wgs_117_tpt_39_halfLds_sp_ip_CI_unitstride_sbrr_C2R_dirReg, .Lfunc_end0-fft_rtc_back_len546_factors_13_3_7_2_wgs_117_tpt_39_halfLds_sp_ip_CI_unitstride_sbrr_C2R_dirReg
                                        ; -- End function
	.section	.AMDGPU.csdata,"",@progbits
; Kernel info:
; codeLenInByte = 12264
; NumSgprs: 23
; NumVgprs: 245
; ScratchSize: 0
; MemoryBound: 0
; FloatMode: 240
; IeeeMode: 1
; LDSByteSize: 0 bytes/workgroup (compile time only)
; SGPRBlocks: 2
; VGPRBlocks: 30
; NumSGPRsForWavesPerEU: 23
; NumVGPRsForWavesPerEU: 245
; Occupancy: 4
; WaveLimiterHint : 1
; COMPUTE_PGM_RSRC2:SCRATCH_EN: 0
; COMPUTE_PGM_RSRC2:USER_SGPR: 6
; COMPUTE_PGM_RSRC2:TRAP_HANDLER: 0
; COMPUTE_PGM_RSRC2:TGID_X_EN: 1
; COMPUTE_PGM_RSRC2:TGID_Y_EN: 0
; COMPUTE_PGM_RSRC2:TGID_Z_EN: 0
; COMPUTE_PGM_RSRC2:TIDIG_COMP_CNT: 0
	.text
	.p2alignl 6, 3214868480
	.fill 48, 4, 3214868480
	.type	__hip_cuid_95084de7130d2303,@object ; @__hip_cuid_95084de7130d2303
	.section	.bss,"aw",@nobits
	.globl	__hip_cuid_95084de7130d2303
__hip_cuid_95084de7130d2303:
	.byte	0                               ; 0x0
	.size	__hip_cuid_95084de7130d2303, 1

	.ident	"AMD clang version 19.0.0git (https://github.com/RadeonOpenCompute/llvm-project roc-6.4.0 25133 c7fe45cf4b819c5991fe208aaa96edf142730f1d)"
	.section	".note.GNU-stack","",@progbits
	.addrsig
	.addrsig_sym __hip_cuid_95084de7130d2303
	.amdgpu_metadata
---
amdhsa.kernels:
  - .args:
      - .actual_access:  read_only
        .address_space:  global
        .offset:         0
        .size:           8
        .value_kind:     global_buffer
      - .offset:         8
        .size:           8
        .value_kind:     by_value
      - .actual_access:  read_only
        .address_space:  global
        .offset:         16
        .size:           8
        .value_kind:     global_buffer
      - .actual_access:  read_only
        .address_space:  global
        .offset:         24
        .size:           8
        .value_kind:     global_buffer
      - .offset:         32
        .size:           8
        .value_kind:     by_value
      - .actual_access:  read_only
        .address_space:  global
        .offset:         40
        .size:           8
        .value_kind:     global_buffer
      - .actual_access:  read_only
        .address_space:  global
        .offset:         48
        .size:           8
        .value_kind:     global_buffer
      - .offset:         56
        .size:           4
        .value_kind:     by_value
      - .actual_access:  read_only
        .address_space:  global
        .offset:         64
        .size:           8
        .value_kind:     global_buffer
      - .actual_access:  read_only
        .address_space:  global
        .offset:         72
        .size:           8
        .value_kind:     global_buffer
      - .address_space:  global
        .offset:         80
        .size:           8
        .value_kind:     global_buffer
    .group_segment_fixed_size: 0
    .kernarg_segment_align: 8
    .kernarg_segment_size: 88
    .language:       OpenCL C
    .language_version:
      - 2
      - 0
    .max_flat_workgroup_size: 117
    .name:           fft_rtc_back_len546_factors_13_3_7_2_wgs_117_tpt_39_halfLds_sp_ip_CI_unitstride_sbrr_C2R_dirReg
    .private_segment_fixed_size: 0
    .sgpr_count:     23
    .sgpr_spill_count: 0
    .symbol:         fft_rtc_back_len546_factors_13_3_7_2_wgs_117_tpt_39_halfLds_sp_ip_CI_unitstride_sbrr_C2R_dirReg.kd
    .uniform_work_group_size: 1
    .uses_dynamic_stack: false
    .vgpr_count:     245
    .vgpr_spill_count: 0
    .wavefront_size: 32
    .workgroup_processor_mode: 1
amdhsa.target:   amdgcn-amd-amdhsa--gfx1030
amdhsa.version:
  - 1
  - 2
...

	.end_amdgpu_metadata
